;; amdgpu-corpus repo=ROCm/rocFFT kind=compiled arch=gfx1201 opt=O3
	.text
	.amdgcn_target "amdgcn-amd-amdhsa--gfx1201"
	.amdhsa_code_object_version 6
	.protected	fft_rtc_fwd_len1280_factors_16_5_16_wgs_80_tpt_80_halfLds_half_ip_CI_unitstride_sbrr_C2R_dirReg ; -- Begin function fft_rtc_fwd_len1280_factors_16_5_16_wgs_80_tpt_80_halfLds_half_ip_CI_unitstride_sbrr_C2R_dirReg
	.globl	fft_rtc_fwd_len1280_factors_16_5_16_wgs_80_tpt_80_halfLds_half_ip_CI_unitstride_sbrr_C2R_dirReg
	.p2align	8
	.type	fft_rtc_fwd_len1280_factors_16_5_16_wgs_80_tpt_80_halfLds_half_ip_CI_unitstride_sbrr_C2R_dirReg,@function
fft_rtc_fwd_len1280_factors_16_5_16_wgs_80_tpt_80_halfLds_half_ip_CI_unitstride_sbrr_C2R_dirReg: ; @fft_rtc_fwd_len1280_factors_16_5_16_wgs_80_tpt_80_halfLds_half_ip_CI_unitstride_sbrr_C2R_dirReg
; %bb.0:
	s_clause 0x2
	s_load_b128 s[4:7], s[0:1], 0x0
	s_load_b64 s[8:9], s[0:1], 0x50
	s_load_b64 s[10:11], s[0:1], 0x18
	v_mul_u32_u24_e32 v1, 0x334, v0
	v_mov_b32_e32 v3, 0
	s_delay_alu instid0(VALU_DEP_2) | instskip(NEXT) | instid1(VALU_DEP_1)
	v_lshrrev_b32_e32 v1, 16, v1
	v_add_nc_u32_e32 v5, ttmp9, v1
	v_mov_b32_e32 v1, 0
	v_mov_b32_e32 v2, 0
	;; [unrolled: 1-line block ×3, first 2 shown]
	s_wait_kmcnt 0x0
	v_cmp_lt_u64_e64 s2, s[6:7], 2
	s_delay_alu instid0(VALU_DEP_1)
	s_and_b32 vcc_lo, exec_lo, s2
	s_cbranch_vccnz .LBB0_8
; %bb.1:
	s_load_b64 s[2:3], s[0:1], 0x10
	v_mov_b32_e32 v1, 0
	v_mov_b32_e32 v2, 0
	s_add_nc_u64 s[12:13], s[10:11], 8
	s_mov_b64 s[14:15], 1
	s_wait_kmcnt 0x0
	s_add_nc_u64 s[16:17], s[2:3], 8
	s_mov_b32 s3, 0
.LBB0_2:                                ; =>This Inner Loop Header: Depth=1
	s_load_b64 s[18:19], s[16:17], 0x0
                                        ; implicit-def: $vgpr7_vgpr8
	s_mov_b32 s2, exec_lo
	s_wait_kmcnt 0x0
	v_or_b32_e32 v4, s19, v6
	s_delay_alu instid0(VALU_DEP_1)
	v_cmpx_ne_u64_e32 0, v[3:4]
	s_wait_alu 0xfffe
	s_xor_b32 s20, exec_lo, s2
	s_cbranch_execz .LBB0_4
; %bb.3:                                ;   in Loop: Header=BB0_2 Depth=1
	s_cvt_f32_u32 s2, s18
	s_cvt_f32_u32 s21, s19
	s_sub_nc_u64 s[24:25], 0, s[18:19]
	s_wait_alu 0xfffe
	s_delay_alu instid0(SALU_CYCLE_1) | instskip(SKIP_1) | instid1(SALU_CYCLE_2)
	s_fmamk_f32 s2, s21, 0x4f800000, s2
	s_wait_alu 0xfffe
	v_s_rcp_f32 s2, s2
	s_delay_alu instid0(TRANS32_DEP_1) | instskip(SKIP_1) | instid1(SALU_CYCLE_2)
	s_mul_f32 s2, s2, 0x5f7ffffc
	s_wait_alu 0xfffe
	s_mul_f32 s21, s2, 0x2f800000
	s_wait_alu 0xfffe
	s_delay_alu instid0(SALU_CYCLE_2) | instskip(SKIP_1) | instid1(SALU_CYCLE_2)
	s_trunc_f32 s21, s21
	s_wait_alu 0xfffe
	s_fmamk_f32 s2, s21, 0xcf800000, s2
	s_cvt_u32_f32 s23, s21
	s_wait_alu 0xfffe
	s_delay_alu instid0(SALU_CYCLE_1) | instskip(SKIP_1) | instid1(SALU_CYCLE_2)
	s_cvt_u32_f32 s22, s2
	s_wait_alu 0xfffe
	s_mul_u64 s[26:27], s[24:25], s[22:23]
	s_wait_alu 0xfffe
	s_mul_hi_u32 s29, s22, s27
	s_mul_i32 s28, s22, s27
	s_mul_hi_u32 s2, s22, s26
	s_mul_i32 s30, s23, s26
	s_wait_alu 0xfffe
	s_add_nc_u64 s[28:29], s[2:3], s[28:29]
	s_mul_hi_u32 s21, s23, s26
	s_mul_hi_u32 s31, s23, s27
	s_add_co_u32 s2, s28, s30
	s_wait_alu 0xfffe
	s_add_co_ci_u32 s2, s29, s21
	s_mul_i32 s26, s23, s27
	s_add_co_ci_u32 s27, s31, 0
	s_wait_alu 0xfffe
	s_add_nc_u64 s[26:27], s[2:3], s[26:27]
	s_wait_alu 0xfffe
	v_add_co_u32 v4, s2, s22, s26
	s_delay_alu instid0(VALU_DEP_1) | instskip(SKIP_1) | instid1(VALU_DEP_1)
	s_cmp_lg_u32 s2, 0
	s_add_co_ci_u32 s23, s23, s27
	v_readfirstlane_b32 s22, v4
	s_wait_alu 0xfffe
	s_delay_alu instid0(VALU_DEP_1)
	s_mul_u64 s[24:25], s[24:25], s[22:23]
	s_wait_alu 0xfffe
	s_mul_hi_u32 s27, s22, s25
	s_mul_i32 s26, s22, s25
	s_mul_hi_u32 s2, s22, s24
	s_mul_i32 s28, s23, s24
	s_wait_alu 0xfffe
	s_add_nc_u64 s[26:27], s[2:3], s[26:27]
	s_mul_hi_u32 s21, s23, s24
	s_mul_hi_u32 s22, s23, s25
	s_wait_alu 0xfffe
	s_add_co_u32 s2, s26, s28
	s_add_co_ci_u32 s2, s27, s21
	s_mul_i32 s24, s23, s25
	s_add_co_ci_u32 s25, s22, 0
	s_wait_alu 0xfffe
	s_add_nc_u64 s[24:25], s[2:3], s[24:25]
	s_wait_alu 0xfffe
	v_add_co_u32 v4, s2, v4, s24
	s_delay_alu instid0(VALU_DEP_1) | instskip(SKIP_1) | instid1(VALU_DEP_1)
	s_cmp_lg_u32 s2, 0
	s_add_co_ci_u32 s2, s23, s25
	v_mul_hi_u32 v13, v5, v4
	s_wait_alu 0xfffe
	v_mad_co_u64_u32 v[7:8], null, v5, s2, 0
	v_mad_co_u64_u32 v[9:10], null, v6, v4, 0
	;; [unrolled: 1-line block ×3, first 2 shown]
	s_delay_alu instid0(VALU_DEP_3) | instskip(SKIP_1) | instid1(VALU_DEP_4)
	v_add_co_u32 v4, vcc_lo, v13, v7
	s_wait_alu 0xfffd
	v_add_co_ci_u32_e32 v7, vcc_lo, 0, v8, vcc_lo
	s_delay_alu instid0(VALU_DEP_2) | instskip(SKIP_1) | instid1(VALU_DEP_2)
	v_add_co_u32 v4, vcc_lo, v4, v9
	s_wait_alu 0xfffd
	v_add_co_ci_u32_e32 v4, vcc_lo, v7, v10, vcc_lo
	s_wait_alu 0xfffd
	v_add_co_ci_u32_e32 v7, vcc_lo, 0, v12, vcc_lo
	s_delay_alu instid0(VALU_DEP_2) | instskip(SKIP_1) | instid1(VALU_DEP_2)
	v_add_co_u32 v4, vcc_lo, v4, v11
	s_wait_alu 0xfffd
	v_add_co_ci_u32_e32 v9, vcc_lo, 0, v7, vcc_lo
	s_delay_alu instid0(VALU_DEP_2) | instskip(SKIP_1) | instid1(VALU_DEP_3)
	v_mul_lo_u32 v10, s19, v4
	v_mad_co_u64_u32 v[7:8], null, s18, v4, 0
	v_mul_lo_u32 v11, s18, v9
	s_delay_alu instid0(VALU_DEP_2) | instskip(NEXT) | instid1(VALU_DEP_2)
	v_sub_co_u32 v7, vcc_lo, v5, v7
	v_add3_u32 v8, v8, v11, v10
	s_delay_alu instid0(VALU_DEP_1) | instskip(SKIP_1) | instid1(VALU_DEP_1)
	v_sub_nc_u32_e32 v10, v6, v8
	s_wait_alu 0xfffd
	v_subrev_co_ci_u32_e64 v10, s2, s19, v10, vcc_lo
	v_add_co_u32 v11, s2, v4, 2
	s_wait_alu 0xf1ff
	v_add_co_ci_u32_e64 v12, s2, 0, v9, s2
	v_sub_co_u32 v13, s2, v7, s18
	v_sub_co_ci_u32_e32 v8, vcc_lo, v6, v8, vcc_lo
	s_wait_alu 0xf1ff
	v_subrev_co_ci_u32_e64 v10, s2, 0, v10, s2
	s_delay_alu instid0(VALU_DEP_3) | instskip(NEXT) | instid1(VALU_DEP_3)
	v_cmp_le_u32_e32 vcc_lo, s18, v13
	v_cmp_eq_u32_e64 s2, s19, v8
	s_wait_alu 0xfffd
	v_cndmask_b32_e64 v13, 0, -1, vcc_lo
	v_cmp_le_u32_e32 vcc_lo, s19, v10
	s_wait_alu 0xfffd
	v_cndmask_b32_e64 v14, 0, -1, vcc_lo
	v_cmp_le_u32_e32 vcc_lo, s18, v7
	;; [unrolled: 3-line block ×3, first 2 shown]
	s_wait_alu 0xfffd
	v_cndmask_b32_e64 v15, 0, -1, vcc_lo
	v_cmp_eq_u32_e32 vcc_lo, s19, v10
	s_wait_alu 0xf1ff
	s_delay_alu instid0(VALU_DEP_2)
	v_cndmask_b32_e64 v7, v15, v7, s2
	s_wait_alu 0xfffd
	v_cndmask_b32_e32 v10, v14, v13, vcc_lo
	v_add_co_u32 v13, vcc_lo, v4, 1
	s_wait_alu 0xfffd
	v_add_co_ci_u32_e32 v14, vcc_lo, 0, v9, vcc_lo
	s_delay_alu instid0(VALU_DEP_3) | instskip(SKIP_2) | instid1(VALU_DEP_3)
	v_cmp_ne_u32_e32 vcc_lo, 0, v10
	s_wait_alu 0xfffd
	v_cndmask_b32_e32 v10, v13, v11, vcc_lo
	v_cndmask_b32_e32 v8, v14, v12, vcc_lo
	v_cmp_ne_u32_e32 vcc_lo, 0, v7
	s_wait_alu 0xfffd
	s_delay_alu instid0(VALU_DEP_2)
	v_dual_cndmask_b32 v7, v4, v10 :: v_dual_cndmask_b32 v8, v9, v8
.LBB0_4:                                ;   in Loop: Header=BB0_2 Depth=1
	s_wait_alu 0xfffe
	s_and_not1_saveexec_b32 s2, s20
	s_cbranch_execz .LBB0_6
; %bb.5:                                ;   in Loop: Header=BB0_2 Depth=1
	v_cvt_f32_u32_e32 v4, s18
	s_sub_co_i32 s20, 0, s18
	s_delay_alu instid0(VALU_DEP_1) | instskip(NEXT) | instid1(TRANS32_DEP_1)
	v_rcp_iflag_f32_e32 v4, v4
	v_mul_f32_e32 v4, 0x4f7ffffe, v4
	s_delay_alu instid0(VALU_DEP_1) | instskip(SKIP_1) | instid1(VALU_DEP_1)
	v_cvt_u32_f32_e32 v4, v4
	s_wait_alu 0xfffe
	v_mul_lo_u32 v7, s20, v4
	s_delay_alu instid0(VALU_DEP_1) | instskip(NEXT) | instid1(VALU_DEP_1)
	v_mul_hi_u32 v7, v4, v7
	v_add_nc_u32_e32 v4, v4, v7
	s_delay_alu instid0(VALU_DEP_1) | instskip(NEXT) | instid1(VALU_DEP_1)
	v_mul_hi_u32 v4, v5, v4
	v_mul_lo_u32 v7, v4, s18
	v_add_nc_u32_e32 v8, 1, v4
	s_delay_alu instid0(VALU_DEP_2) | instskip(NEXT) | instid1(VALU_DEP_1)
	v_sub_nc_u32_e32 v7, v5, v7
	v_subrev_nc_u32_e32 v9, s18, v7
	v_cmp_le_u32_e32 vcc_lo, s18, v7
	s_wait_alu 0xfffd
	s_delay_alu instid0(VALU_DEP_2) | instskip(NEXT) | instid1(VALU_DEP_1)
	v_dual_cndmask_b32 v7, v7, v9 :: v_dual_cndmask_b32 v4, v4, v8
	v_cmp_le_u32_e32 vcc_lo, s18, v7
	s_delay_alu instid0(VALU_DEP_2) | instskip(SKIP_1) | instid1(VALU_DEP_1)
	v_add_nc_u32_e32 v8, 1, v4
	s_wait_alu 0xfffd
	v_dual_cndmask_b32 v7, v4, v8 :: v_dual_mov_b32 v8, v3
.LBB0_6:                                ;   in Loop: Header=BB0_2 Depth=1
	s_wait_alu 0xfffe
	s_or_b32 exec_lo, exec_lo, s2
	s_load_b64 s[20:21], s[12:13], 0x0
	s_delay_alu instid0(VALU_DEP_1)
	v_mul_lo_u32 v4, v8, s18
	v_mul_lo_u32 v11, v7, s19
	v_mad_co_u64_u32 v[9:10], null, v7, s18, 0
	s_add_nc_u64 s[14:15], s[14:15], 1
	s_add_nc_u64 s[12:13], s[12:13], 8
	s_wait_alu 0xfffe
	v_cmp_ge_u64_e64 s2, s[14:15], s[6:7]
	s_add_nc_u64 s[16:17], s[16:17], 8
	s_delay_alu instid0(VALU_DEP_2) | instskip(NEXT) | instid1(VALU_DEP_3)
	v_add3_u32 v4, v10, v11, v4
	v_sub_co_u32 v5, vcc_lo, v5, v9
	s_wait_alu 0xfffd
	s_delay_alu instid0(VALU_DEP_2) | instskip(SKIP_3) | instid1(VALU_DEP_2)
	v_sub_co_ci_u32_e32 v4, vcc_lo, v6, v4, vcc_lo
	s_and_b32 vcc_lo, exec_lo, s2
	s_wait_kmcnt 0x0
	v_mul_lo_u32 v6, s21, v5
	v_mul_lo_u32 v4, s20, v4
	v_mad_co_u64_u32 v[1:2], null, s20, v5, v[1:2]
	s_delay_alu instid0(VALU_DEP_1)
	v_add3_u32 v2, v6, v2, v4
	s_wait_alu 0xfffe
	s_cbranch_vccnz .LBB0_9
; %bb.7:                                ;   in Loop: Header=BB0_2 Depth=1
	v_dual_mov_b32 v5, v7 :: v_dual_mov_b32 v6, v8
	s_branch .LBB0_2
.LBB0_8:
	v_dual_mov_b32 v8, v6 :: v_dual_mov_b32 v7, v5
.LBB0_9:
	s_lshl_b64 s[2:3], s[6:7], 3
	v_mul_hi_u32 v5, 0x3333334, v0
	s_wait_alu 0xfffe
	s_add_nc_u64 s[2:3], s[10:11], s[2:3]
	s_load_b64 s[2:3], s[2:3], 0x0
	s_load_b64 s[0:1], s[0:1], 0x20
	s_wait_kmcnt 0x0
	v_mul_lo_u32 v3, s2, v8
	v_mul_lo_u32 v4, s3, v7
	v_mad_co_u64_u32 v[1:2], null, s2, v7, v[1:2]
	v_cmp_gt_u64_e32 vcc_lo, s[0:1], v[7:8]
	s_delay_alu instid0(VALU_DEP_2) | instskip(SKIP_1) | instid1(VALU_DEP_2)
	v_add3_u32 v2, v4, v2, v3
	v_mul_u32_u24_e32 v4, 0x50, v5
	v_lshlrev_b64_e32 v[2:3], 2, v[1:2]
	s_delay_alu instid0(VALU_DEP_2)
	v_sub_nc_u32_e32 v0, v0, v4
	s_and_saveexec_b32 s1, vcc_lo
	s_cbranch_execz .LBB0_13
; %bb.10:
	v_mov_b32_e32 v1, 0
	s_delay_alu instid0(VALU_DEP_3) | instskip(SKIP_2) | instid1(VALU_DEP_3)
	v_add_co_u32 v4, s0, s8, v2
	s_wait_alu 0xf1ff
	v_add_co_ci_u32_e64 v5, s0, s9, v3, s0
	v_lshlrev_b64_e32 v[6:7], 2, v[0:1]
	s_mov_b32 s2, exec_lo
	s_delay_alu instid0(VALU_DEP_1) | instskip(SKIP_1) | instid1(VALU_DEP_2)
	v_add_co_u32 v6, s0, v4, v6
	s_wait_alu 0xf1ff
	v_add_co_ci_u32_e64 v7, s0, v5, v7, s0
	s_clause 0xf
	global_load_b32 v8, v[6:7], off
	global_load_b32 v9, v[6:7], off offset:320
	global_load_b32 v10, v[6:7], off offset:640
	;; [unrolled: 1-line block ×15, first 2 shown]
	v_lshl_add_u32 v7, v0, 2, 0
	s_delay_alu instid0(VALU_DEP_1)
	v_add_nc_u32_e32 v24, 0x600, v7
	v_add_nc_u32_e32 v23, 0x400, v7
	;; [unrolled: 1-line block ×6, first 2 shown]
	s_wait_loadcnt 0xe
	ds_store_2addr_b32 v7, v8, v9 offset1:80
	s_wait_loadcnt 0xc
	ds_store_2addr_b32 v7, v10, v11 offset0:160 offset1:240
	s_wait_loadcnt 0xa
	ds_store_2addr_b32 v23, v12, v13 offset0:64 offset1:144
	;; [unrolled: 2-line block ×7, first 2 shown]
	v_cmpx_eq_u32_e32 0x4f, v0
	s_cbranch_execz .LBB0_12
; %bb.11:
	global_load_b32 v4, v[4:5], off offset:5120
	v_mov_b32_e32 v0, 0x4f
	s_wait_loadcnt 0x0
	ds_store_b32 v1, v4 offset:5120
.LBB0_12:
	s_wait_alu 0xfffe
	s_or_b32 exec_lo, exec_lo, s2
.LBB0_13:
	s_wait_alu 0xfffe
	s_or_b32 exec_lo, exec_lo, s1
	v_lshlrev_b32_e32 v1, 2, v0
	global_wb scope:SCOPE_SE
	s_wait_dscnt 0x0
	s_barrier_signal -1
	s_barrier_wait -1
	global_inv scope:SCOPE_SE
	v_add_nc_u32_e32 v22, 0, v1
	v_sub_nc_u32_e32 v6, 0, v1
	s_mov_b32 s1, exec_lo
                                        ; implicit-def: $vgpr4_vgpr5
	ds_load_u16 v9, v22
	ds_load_u16 v10, v6 offset:5120
	s_wait_dscnt 0x0
	v_add_f16_e32 v8, v10, v9
	v_sub_f16_e32 v7, v9, v10
	v_cmpx_ne_u32_e32 0, v0
	s_wait_alu 0xfffe
	s_xor_b32 s1, exec_lo, s1
	s_cbranch_execz .LBB0_15
; %bb.14:
	v_mov_b32_e32 v1, 0
	v_add_f16_e32 v8, v10, v9
	v_sub_f16_e32 v9, v9, v10
	s_delay_alu instid0(VALU_DEP_3) | instskip(NEXT) | instid1(VALU_DEP_1)
	v_lshlrev_b64_e32 v[4:5], 2, v[0:1]
	v_add_co_u32 v4, s0, s4, v4
	s_wait_alu 0xf1ff
	s_delay_alu instid0(VALU_DEP_2)
	v_add_co_ci_u32_e64 v5, s0, s5, v5, s0
	global_load_b32 v4, v[4:5], off offset:5056
	ds_load_u16 v5, v6 offset:5122
	ds_load_u16 v7, v22 offset:2
	s_wait_dscnt 0x0
	v_add_f16_e32 v10, v5, v7
	v_sub_f16_e32 v5, v7, v5
	s_wait_loadcnt 0x0
	v_lshrrev_b32_e32 v11, 16, v4
	s_delay_alu instid0(VALU_DEP_1) | instskip(NEXT) | instid1(VALU_DEP_3)
	v_fma_f16 v12, -v9, v11, v8
	v_fma_f16 v13, v10, v11, -v5
	v_fma_f16 v7, v10, v11, v5
	v_fma_f16 v8, v9, v11, v8
	s_delay_alu instid0(VALU_DEP_4) | instskip(NEXT) | instid1(VALU_DEP_4)
	v_fmac_f16_e32 v12, v4, v10
	v_fmac_f16_e32 v13, v9, v4
	s_delay_alu instid0(VALU_DEP_4) | instskip(NEXT) | instid1(VALU_DEP_4)
	v_fmac_f16_e32 v7, v9, v4
	v_fma_f16 v8, -v4, v10, v8
	v_dual_mov_b32 v5, v1 :: v_dual_mov_b32 v4, v0
	s_delay_alu instid0(VALU_DEP_4)
	v_pack_b32_f16 v9, v12, v13
	ds_store_b32 v6, v9 offset:5120
.LBB0_15:
	s_wait_alu 0xfffe
	s_and_not1_saveexec_b32 s0, s1
	s_cbranch_execz .LBB0_17
; %bb.16:
	v_mov_b32_e32 v1, 0
	ds_load_b32 v4, v1 offset:2560
	s_wait_dscnt 0x0
	v_pk_mul_f16 v9, 0xc0004000, v4
	v_mov_b32_e32 v4, 0
	v_mov_b32_e32 v5, 0
	ds_store_b32 v1, v9 offset:2560
.LBB0_17:
	s_wait_alu 0xfffe
	s_or_b32 exec_lo, exec_lo, s0
	v_lshlrev_b64_e32 v[4:5], 2, v[4:5]
	s_add_nc_u64 s[0:1], s[4:5], 0x13c0
	v_perm_b32 v7, v7, v8, 0x5040100
	v_add_nc_u32_e32 v24, 0x400, v22
	v_add_nc_u32_e32 v21, 0x800, v22
	;; [unrolled: 1-line block ×3, first 2 shown]
	s_wait_alu 0xfffe
	v_add_co_u32 v4, s0, s0, v4
	s_wait_alu 0xf1ff
	v_add_co_ci_u32_e64 v5, s0, s1, v5, s0
	v_add_nc_u32_e32 v26, 0x1000, v22
	v_add_nc_u32_e32 v27, 0x200, v22
	;; [unrolled: 1-line block ×3, first 2 shown]
	s_clause 0x6
	global_load_b32 v1, v[4:5], off offset:320
	global_load_b32 v9, v[4:5], off offset:640
	;; [unrolled: 1-line block ×7, first 2 shown]
	ds_store_b32 v22, v7
	ds_load_b32 v5, v22 offset:320
	ds_load_b32 v7, v6 offset:4800
	v_cmp_gt_u32_e64 s0, 16, v0
	s_wait_dscnt 0x1
	v_lshrrev_b32_e32 v8, 16, v5
	s_wait_dscnt 0x0
	v_lshrrev_b32_e32 v14, 16, v7
	v_add_f16_e32 v15, v5, v7
	v_sub_f16_e32 v5, v5, v7
	s_delay_alu instid0(VALU_DEP_3) | instskip(SKIP_3) | instid1(VALU_DEP_1)
	v_add_f16_e32 v7, v14, v8
	v_sub_f16_e32 v8, v8, v14
	s_wait_loadcnt 0x6
	v_lshrrev_b32_e32 v16, 16, v1
	v_fma_f16 v14, v5, v16, v15
	s_delay_alu instid0(VALU_DEP_3) | instskip(SKIP_2) | instid1(VALU_DEP_4)
	v_fma_f16 v17, v7, v16, v8
	v_fma_f16 v15, -v5, v16, v15
	v_fma_f16 v8, v7, v16, -v8
	v_fma_f16 v14, -v1, v7, v14
	s_delay_alu instid0(VALU_DEP_4) | instskip(NEXT) | instid1(VALU_DEP_4)
	v_fmac_f16_e32 v17, v5, v1
	v_fmac_f16_e32 v15, v1, v7
	s_delay_alu instid0(VALU_DEP_4) | instskip(NEXT) | instid1(VALU_DEP_3)
	v_fmac_f16_e32 v8, v5, v1
	v_pack_b32_f16 v1, v14, v17
	s_wait_loadcnt 0x5
	v_lshrrev_b32_e32 v14, 16, v9
	s_delay_alu instid0(VALU_DEP_3)
	v_pack_b32_f16 v5, v15, v8
	ds_store_b32 v22, v1 offset:320
	ds_store_b32 v6, v5 offset:4800
	ds_load_b32 v1, v22 offset:640
	ds_load_b32 v5, v6 offset:4480
	s_wait_dscnt 0x1
	v_lshrrev_b32_e32 v7, 16, v1
	s_wait_dscnt 0x0
	v_lshrrev_b32_e32 v8, 16, v5
	v_add_f16_e32 v15, v1, v5
	v_sub_f16_e32 v1, v1, v5
	s_delay_alu instid0(VALU_DEP_3) | instskip(SKIP_1) | instid1(VALU_DEP_3)
	v_add_f16_e32 v5, v8, v7
	v_sub_f16_e32 v7, v7, v8
	v_fma_f16 v8, v1, v14, v15
	v_fma_f16 v15, -v1, v14, v15
	s_delay_alu instid0(VALU_DEP_3) | instskip(SKIP_1) | instid1(VALU_DEP_4)
	v_fma_f16 v16, v5, v14, v7
	v_fma_f16 v7, v5, v14, -v7
	v_fma_f16 v8, -v9, v5, v8
	s_delay_alu instid0(VALU_DEP_4) | instskip(NEXT) | instid1(VALU_DEP_4)
	v_fmac_f16_e32 v15, v9, v5
	v_fmac_f16_e32 v16, v1, v9
	s_delay_alu instid0(VALU_DEP_4) | instskip(SKIP_2) | instid1(VALU_DEP_3)
	v_fmac_f16_e32 v7, v1, v9
	s_wait_loadcnt 0x4
	v_lshrrev_b32_e32 v9, 16, v10
	v_pack_b32_f16 v1, v8, v16
	s_delay_alu instid0(VALU_DEP_3)
	v_pack_b32_f16 v5, v15, v7
	ds_store_b32 v22, v1 offset:640
	ds_store_b32 v6, v5 offset:4480
	ds_load_b32 v1, v22 offset:960
	ds_load_b32 v5, v6 offset:4160
	s_wait_dscnt 0x1
	v_lshrrev_b32_e32 v7, 16, v1
	s_wait_dscnt 0x0
	v_lshrrev_b32_e32 v8, 16, v5
	v_add_f16_e32 v14, v1, v5
	v_sub_f16_e32 v1, v1, v5
	s_delay_alu instid0(VALU_DEP_3) | instskip(SKIP_1) | instid1(VALU_DEP_3)
	v_add_f16_e32 v5, v8, v7
	v_sub_f16_e32 v7, v7, v8
	v_fma_f16 v8, v1, v9, v14
	v_fma_f16 v14, -v1, v9, v14
	s_delay_alu instid0(VALU_DEP_3) | instskip(SKIP_1) | instid1(VALU_DEP_4)
	v_fma_f16 v15, v5, v9, v7
	v_fma_f16 v7, v5, v9, -v7
	v_fma_f16 v8, -v10, v5, v8
	s_delay_alu instid0(VALU_DEP_4) | instskip(SKIP_4) | instid1(VALU_DEP_2)
	v_fmac_f16_e32 v14, v10, v5
	s_wait_loadcnt 0x3
	v_lshrrev_b32_e32 v9, 16, v11
	v_fmac_f16_e32 v15, v1, v10
	v_fmac_f16_e32 v7, v1, v10
	v_pack_b32_f16 v1, v8, v15
	s_delay_alu instid0(VALU_DEP_2)
	v_pack_b32_f16 v5, v14, v7
	ds_store_b32 v22, v1 offset:960
	ds_store_b32 v6, v5 offset:4160
	ds_load_b32 v1, v22 offset:1280
	ds_load_b32 v5, v6 offset:3840
	v_add_nc_u32_e32 v15, 0xe00, v22
	s_wait_dscnt 0x1
	v_lshrrev_b32_e32 v7, 16, v1
	s_wait_dscnt 0x0
	v_lshrrev_b32_e32 v8, 16, v5
	v_add_f16_e32 v10, v1, v5
	v_sub_f16_e32 v1, v1, v5
	s_delay_alu instid0(VALU_DEP_3) | instskip(SKIP_1) | instid1(VALU_DEP_3)
	v_add_f16_e32 v5, v8, v7
	v_sub_f16_e32 v7, v7, v8
	v_fma_f16 v8, v1, v9, v10
	v_fma_f16 v10, -v1, v9, v10
	s_delay_alu instid0(VALU_DEP_3) | instskip(SKIP_1) | instid1(VALU_DEP_4)
	v_fma_f16 v14, v5, v9, v7
	v_fma_f16 v7, v5, v9, -v7
	v_fma_f16 v8, -v11, v5, v8
	s_delay_alu instid0(VALU_DEP_4) | instskip(SKIP_4) | instid1(VALU_DEP_2)
	v_fmac_f16_e32 v10, v11, v5
	s_wait_loadcnt 0x2
	v_lshrrev_b32_e32 v9, 16, v12
	v_fmac_f16_e32 v14, v1, v11
	v_fmac_f16_e32 v7, v1, v11
	v_pack_b32_f16 v1, v8, v14
	s_delay_alu instid0(VALU_DEP_2)
	v_pack_b32_f16 v5, v10, v7
	ds_store_b32 v22, v1 offset:1280
	ds_store_b32 v6, v5 offset:3840
	ds_load_b32 v1, v22 offset:1600
	ds_load_b32 v5, v6 offset:3520
	s_wait_dscnt 0x1
	v_lshrrev_b32_e32 v7, 16, v1
	s_wait_dscnt 0x0
	v_lshrrev_b32_e32 v8, 16, v5
	v_add_f16_e32 v10, v1, v5
	v_sub_f16_e32 v1, v1, v5
	s_delay_alu instid0(VALU_DEP_3) | instskip(SKIP_1) | instid1(VALU_DEP_3)
	v_add_f16_e32 v5, v8, v7
	v_sub_f16_e32 v7, v7, v8
	v_fma_f16 v8, v1, v9, v10
	v_fma_f16 v10, -v1, v9, v10
	s_delay_alu instid0(VALU_DEP_3) | instskip(SKIP_1) | instid1(VALU_DEP_4)
	v_fma_f16 v11, v5, v9, v7
	v_fma_f16 v7, v5, v9, -v7
	v_fma_f16 v8, -v12, v5, v8
	s_delay_alu instid0(VALU_DEP_4) | instskip(SKIP_4) | instid1(VALU_DEP_2)
	v_fmac_f16_e32 v10, v12, v5
	s_wait_loadcnt 0x1
	v_lshrrev_b32_e32 v9, 16, v13
	v_fmac_f16_e32 v11, v1, v12
	v_fmac_f16_e32 v7, v1, v12
	v_pack_b32_f16 v1, v8, v11
	s_delay_alu instid0(VALU_DEP_2)
	v_pack_b32_f16 v5, v10, v7
	ds_store_b32 v22, v1 offset:1600
	ds_store_b32 v6, v5 offset:3520
	ds_load_b32 v1, v22 offset:1920
	ds_load_b32 v5, v6 offset:3200
	s_wait_dscnt 0x1
	v_lshrrev_b32_e32 v7, 16, v1
	s_wait_dscnt 0x0
	v_lshrrev_b32_e32 v8, 16, v5
	v_add_f16_e32 v10, v1, v5
	v_sub_f16_e32 v1, v1, v5
	s_delay_alu instid0(VALU_DEP_3) | instskip(SKIP_1) | instid1(VALU_DEP_3)
	v_add_f16_e32 v5, v8, v7
	v_sub_f16_e32 v7, v7, v8
	v_fma_f16 v8, v1, v9, v10
	v_fma_f16 v10, -v1, v9, v10
	s_delay_alu instid0(VALU_DEP_3) | instskip(SKIP_1) | instid1(VALU_DEP_4)
	v_fma_f16 v11, v5, v9, v7
	v_fma_f16 v7, v5, v9, -v7
	v_fma_f16 v8, -v13, v5, v8
	s_delay_alu instid0(VALU_DEP_4) | instskip(SKIP_4) | instid1(VALU_DEP_2)
	v_fmac_f16_e32 v10, v13, v5
	s_wait_loadcnt 0x0
	v_lshrrev_b32_e32 v9, 16, v4
	v_fmac_f16_e32 v11, v1, v13
	v_fmac_f16_e32 v7, v1, v13
	v_pack_b32_f16 v1, v8, v11
	s_delay_alu instid0(VALU_DEP_2)
	v_pack_b32_f16 v5, v10, v7
	ds_store_b32 v22, v1 offset:1920
	ds_store_b32 v6, v5 offset:3200
	ds_load_b32 v1, v22 offset:2240
	ds_load_b32 v5, v6 offset:2880
	s_wait_dscnt 0x1
	v_lshrrev_b32_e32 v7, 16, v1
	s_wait_dscnt 0x0
	v_lshrrev_b32_e32 v8, 16, v5
	v_add_f16_e32 v10, v1, v5
	v_sub_f16_e32 v1, v1, v5
	s_delay_alu instid0(VALU_DEP_3) | instskip(SKIP_1) | instid1(VALU_DEP_3)
	v_add_f16_e32 v5, v8, v7
	v_sub_f16_e32 v7, v7, v8
	v_fma_f16 v8, v1, v9, v10
	v_fma_f16 v10, -v1, v9, v10
	s_delay_alu instid0(VALU_DEP_3) | instskip(SKIP_1) | instid1(VALU_DEP_4)
	v_fma_f16 v11, v5, v9, v7
	v_fma_f16 v7, v5, v9, -v7
	v_fma_f16 v8, -v4, v5, v8
	s_delay_alu instid0(VALU_DEP_4) | instskip(NEXT) | instid1(VALU_DEP_4)
	v_fmac_f16_e32 v10, v4, v5
	v_fmac_f16_e32 v11, v1, v4
	s_delay_alu instid0(VALU_DEP_4) | instskip(SKIP_1) | instid1(VALU_DEP_3)
	v_fmac_f16_e32 v7, v1, v4
	v_add_nc_u32_e32 v1, 0x600, v22
	v_pack_b32_f16 v4, v8, v11
	s_delay_alu instid0(VALU_DEP_3)
	v_pack_b32_f16 v5, v10, v7
	ds_store_b32 v22, v4 offset:2240
	ds_store_b32 v6, v5 offset:2880
	global_wb scope:SCOPE_SE
	s_wait_dscnt 0x0
	s_barrier_signal -1
	s_barrier_wait -1
	global_inv scope:SCOPE_SE
	global_wb scope:SCOPE_SE
	s_barrier_signal -1
	s_barrier_wait -1
	global_inv scope:SCOPE_SE
	ds_load_2addr_b32 v[5:6], v22 offset1:80
	ds_load_2addr_b32 v[7:8], v22 offset0:160 offset1:240
	ds_load_2addr_b32 v[9:10], v24 offset0:64 offset1:144
	ds_load_2addr_b32 v[11:12], v1 offset0:96 offset1:176
	ds_load_2addr_b32 v[13:14], v21 offset0:128 offset1:208
	ds_load_2addr_b32 v[15:16], v15 offset0:64 offset1:144
	ds_load_2addr_b32 v[17:18], v25 offset0:32 offset1:112
	ds_load_2addr_b32 v[19:20], v26 offset0:96 offset1:176
	v_mad_u32_u24 v4, v0, 60, v22
	global_wb scope:SCOPE_SE
	s_wait_dscnt 0x0
	s_barrier_signal -1
	s_barrier_wait -1
	global_inv scope:SCOPE_SE
	v_pk_add_f16 v1, v5, v13 neg_lo:[0,1] neg_hi:[0,1]
	v_pk_add_f16 v13, v9, v15 neg_lo:[0,1] neg_hi:[0,1]
	;; [unrolled: 1-line block ×8, first 2 shown]
	v_pk_fma_f16 v7, v7, 2.0, v15 op_sel_hi:[1,0,1] neg_lo:[0,0,1] neg_hi:[0,0,1]
	v_pk_fma_f16 v11, v11, 2.0, v17 op_sel_hi:[1,0,1] neg_lo:[0,0,1] neg_hi:[0,0,1]
	v_lshrrev_b32_e32 v20, 16, v13
	v_lshrrev_b32_e32 v23, 16, v1
	v_lshrrev_b32_e32 v29, 16, v17
	v_lshrrev_b32_e32 v30, 16, v15
	v_lshrrev_b32_e32 v31, 16, v16
	v_lshrrev_b32_e32 v32, 16, v14
	v_lshrrev_b32_e32 v33, 16, v19
	v_lshrrev_b32_e32 v34, 16, v18
	v_pk_fma_f16 v5, v5, 2.0, v1 op_sel_hi:[1,0,1] neg_lo:[0,0,1] neg_hi:[0,0,1]
	v_pk_fma_f16 v9, v9, 2.0, v13 op_sel_hi:[1,0,1] neg_lo:[0,0,1] neg_hi:[0,0,1]
	;; [unrolled: 1-line block ×6, first 2 shown]
	v_sub_f16_e32 v20, v1, v20
	v_add_f16_e32 v13, v23, v13
	v_pk_add_f16 v11, v7, v11 neg_lo:[0,1] neg_hi:[0,1]
	v_sub_f16_e32 v29, v15, v29
	v_add_f16_e32 v17, v30, v17
	v_sub_f16_e32 v31, v14, v31
	v_add_f16_e32 v16, v32, v16
	;; [unrolled: 2-line block ×3, first 2 shown]
	v_pk_add_f16 v9, v5, v9 neg_lo:[0,1] neg_hi:[0,1]
	v_pk_add_f16 v10, v6, v10 neg_lo:[0,1] neg_hi:[0,1]
	;; [unrolled: 1-line block ×3, first 2 shown]
	v_fma_f16 v35, v1, 2.0, -v20
	v_fma_f16 v36, v23, 2.0, -v13
	v_pk_fma_f16 v1, v7, 2.0, v11 op_sel_hi:[1,0,1] neg_lo:[0,0,1] neg_hi:[0,0,1]
	v_fma_f16 v7, v15, 2.0, -v29
	v_fma_f16 v15, v30, 2.0, -v17
	;; [unrolled: 1-line block ×6, first 2 shown]
	v_fmamk_f16 v37, v29, 0x39a8, v20
	v_fmamk_f16 v38, v17, 0x39a8, v13
	v_lshrrev_b32_e32 v32, 16, v11
	v_lshrrev_b32_e32 v34, 16, v9
	;; [unrolled: 1-line block ×4, first 2 shown]
	v_fmamk_f16 v41, v33, 0x39a8, v31
	v_fmamk_f16 v42, v19, 0x39a8, v16
	;; [unrolled: 1-line block ×4, first 2 shown]
	v_fmac_f16_e32 v37, 0xb9a8, v17
	v_fmac_f16_e32 v38, 0x39a8, v29
	v_fmamk_f16 v17, v18, 0xb9a8, v14
	v_fmamk_f16 v29, v23, 0xb9a8, v30
	v_pk_fma_f16 v5, v5, 2.0, v9 op_sel_hi:[1,0,1] neg_lo:[0,0,1] neg_hi:[0,0,1]
	v_pk_fma_f16 v6, v6, 2.0, v10 op_sel_hi:[1,0,1] neg_lo:[0,0,1] neg_hi:[0,0,1]
	;; [unrolled: 1-line block ×3, first 2 shown]
	v_sub_f16_e32 v32, v9, v32
	v_add_f16_e32 v11, v34, v11
	v_sub_f16_e32 v39, v10, v39
	v_add_f16_e32 v12, v40, v12
	v_fmac_f16_e32 v41, 0xb9a8, v19
	v_fmac_f16_e32 v42, 0x39a8, v33
	;; [unrolled: 1-line block ×6, first 2 shown]
	v_pk_add_f16 v43, v5, v1 neg_lo:[0,1] neg_hi:[0,1]
	v_pk_add_f16 v8, v6, v8 neg_lo:[0,1] neg_hi:[0,1]
	v_fma_f16 v7, v9, 2.0, -v32
	v_fma_f16 v9, v34, 2.0, -v11
	;; [unrolled: 1-line block ×8, first 2 shown]
	v_fmamk_f16 v33, v39, 0x39a8, v32
	v_fmamk_f16 v34, v12, 0x39a8, v11
	v_fma_f16 v35, v35, 2.0, -v44
	v_fma_f16 v36, v36, 2.0, -v45
	v_fma_f16 v14, v14, 2.0, -v17
	v_fma_f16 v30, v30, 2.0, -v29
	v_lshrrev_b32_e32 v20, 16, v8
	v_lshrrev_b32_e32 v31, 16, v43
	v_fmamk_f16 v1, v41, 0x3b64, v37
	v_fmamk_f16 v23, v42, 0x3b64, v38
	;; [unrolled: 1-line block ×8, first 2 shown]
	v_fmac_f16_e32 v33, 0xb9a8, v12
	v_fmac_f16_e32 v34, 0x39a8, v39
	v_fmamk_f16 v12, v14, 0xbb64, v35
	v_fmamk_f16 v39, v30, 0xbb64, v36
	v_pk_fma_f16 v6, v6, 2.0, v8 op_sel_hi:[1,0,1] neg_lo:[0,0,1] neg_hi:[0,0,1]
	v_sub_f16_e32 v20, v43, v20
	v_add_f16_e32 v8, v31, v8
	v_fmac_f16_e32 v1, 0xb61f, v42
	v_fmac_f16_e32 v23, 0x361f, v41
	v_pk_fma_f16 v5, v5, 2.0, v43 op_sel_hi:[1,0,1] neg_lo:[0,0,1] neg_hi:[0,0,1]
	v_fmac_f16_e32 v40, 0xb9a8, v18
	v_fmac_f16_e32 v46, 0x39a8, v10
	;; [unrolled: 1-line block ×8, first 2 shown]
	v_fma_f16 v10, v43, 2.0, -v20
	v_fma_f16 v16, v31, 2.0, -v8
	;; [unrolled: 1-line block ×6, first 2 shown]
	v_pk_add_f16 v6, v5, v6 neg_lo:[0,1] neg_hi:[0,1]
	v_fma_f16 v7, v7, 2.0, -v40
	v_fma_f16 v9, v9, 2.0, -v46
	;; [unrolled: 1-line block ×8, first 2 shown]
	v_pack_b32_f16 v12, v12, v39
	v_pack_b32_f16 v10, v10, v16
	;; [unrolled: 1-line block ×10, first 2 shown]
	v_pk_fma_f16 v5, v5, 2.0, v6 op_sel_hi:[1,0,1] neg_lo:[0,0,1] neg_hi:[0,0,1]
	v_pack_b32_f16 v13, v14, v13
	v_pack_b32_f16 v7, v7, v9
	;; [unrolled: 1-line block ×4, first 2 shown]
	ds_store_2addr_b32 v4, v6, v12 offset0:8 offset1:9
	ds_store_2addr_b32 v4, v18, v17 offset0:10 offset1:11
	;; [unrolled: 1-line block ×4, first 2 shown]
	ds_store_2addr_b32 v4, v5, v14 offset1:1
	ds_store_2addr_b32 v4, v7, v13 offset0:2 offset1:3
	ds_store_2addr_b32 v4, v10, v9 offset0:4 offset1:5
	;; [unrolled: 1-line block ×3, first 2 shown]
	global_wb scope:SCOPE_SE
	s_wait_dscnt 0x0
	s_barrier_signal -1
	s_barrier_wait -1
	global_inv scope:SCOPE_SE
	ds_load_2addr_b32 v[10:11], v22 offset1:80
	ds_load_2addr_b32 v[8:9], v27 offset0:32 offset1:128
	ds_load_2addr_b32 v[20:21], v21 offset1:80
	ds_load_2addr_b32 v[12:13], v28 offset0:32 offset1:128
	;; [unrolled: 2-line block ×3, first 2 shown]
	ds_load_2addr_b32 v[14:15], v25 offset0:80 offset1:160
	ds_load_b32 v39, v22 offset:4736
                                        ; implicit-def: $vgpr24
                                        ; implicit-def: $vgpr5
                                        ; implicit-def: $vgpr25
                                        ; implicit-def: $vgpr26
                                        ; implicit-def: $vgpr7
                                        ; implicit-def: $vgpr27
	s_and_saveexec_b32 s1, s0
	s_cbranch_execz .LBB0_19
; %bb.18:
	v_mad_i32_i24 v1, 0xffffffc4, v0, v4
	s_delay_alu instid0(VALU_DEP_1)
	v_add_nc_u32_e32 v4, 0xc0, v1
	ds_load_b32 v1, v22 offset:960
	ds_load_2addr_stride64_b32 v[6:7], v4 offset0:7 offset1:11
	ds_load_2addr_stride64_b32 v[4:5], v4 offset0:15 offset1:19
	s_wait_dscnt 0x2
	v_lshrrev_b32_e32 v23, 16, v1
	s_wait_dscnt 0x1
	v_lshrrev_b32_e32 v27, 16, v6
	v_lshrrev_b32_e32 v26, 16, v7
	s_wait_dscnt 0x0
	v_lshrrev_b32_e32 v25, 16, v4
	v_lshrrev_b32_e32 v24, 16, v5
.LBB0_19:
	s_wait_alu 0xfffe
	s_or_b32 exec_lo, exec_lo, s1
	v_lshlrev_b32_e32 v28, 4, v0
	v_and_b32_e32 v40, 15, v0
	v_add_nc_u32_e32 v42, 0x50, v0
	v_add_nc_u32_e32 v43, 0xa0, v0
	v_lshrrev_b32_e32 v54, 4, v0
	v_and_b32_e32 v35, 0xf0, v28
	v_lshlrev_b32_e32 v36, 4, v40
	v_lshrrev_b32_e32 v42, 4, v42
	v_lshrrev_b32_e32 v43, 4, v43
	v_mul_u32_u24_e32 v54, 0x50, v54
	s_clause 0x7
	global_load_b32 v28, v35, s[4:5]
	global_load_b32 v32, v35, s[4:5] offset:2
	global_load_b32 v29, v35, s[4:5] offset:4
	;; [unrolled: 1-line block ×6, first 2 shown]
	global_load_u16 v41, v36, s[4:5]
	v_mul_u32_u24_e32 v42, 0x50, v42
	v_mul_u32_u24_e32 v43, 0x50, v43
	v_or_b32_e32 v54, v54, v40
	s_wait_dscnt 0x6
	v_lshrrev_b32_e32 v46, 16, v9
	s_wait_dscnt 0x5
	v_lshrrev_b32_e32 v47, 16, v20
	;; [unrolled: 2-line block ×4, first 2 shown]
	v_or_b32_e32 v42, v42, v40
	v_or_b32_e32 v40, v43, v40
	v_lshl_add_u32 v43, v54, 2, 0
	s_wait_dscnt 0x2
	v_lshrrev_b32_e32 v50, 16, v16
	v_lshrrev_b32_e32 v51, 16, v21
	s_wait_dscnt 0x1
	v_lshrrev_b32_e32 v52, 16, v14
	v_lshrrev_b32_e32 v53, 16, v19
	;; [unrolled: 1-line block ×3, first 2 shown]
	s_wait_dscnt 0x0
	v_lshrrev_b32_e32 v45, 16, v39
	v_lshrrev_b32_e32 v55, 16, v17
	;; [unrolled: 1-line block ×6, first 2 shown]
	v_lshl_add_u32 v42, v42, 2, 0
	global_wb scope:SCOPE_SE
	s_wait_loadcnt 0x0
	s_barrier_signal -1
	s_barrier_wait -1
	global_inv scope:SCOPE_SE
	v_lshl_add_u32 v40, v40, 2, 0
	v_lshrrev_b32_e32 v54, 16, v28
	v_lshrrev_b32_e32 v57, 16, v32
	;; [unrolled: 1-line block ×7, first 2 shown]
	v_mul_f16_e32 v63, v54, v46
	v_mul_f16_e32 v64, v54, v9
	;; [unrolled: 1-line block ×24, first 2 shown]
	v_fma_f16 v9, v41, v9, -v63
	v_fmac_f16_e32 v64, v41, v46
	v_fma_f16 v20, v57, v20, -v65
	v_fmac_f16_e32 v66, v57, v47
	v_fma_f16 v13, v59, v13, -v67
	v_fmac_f16_e32 v68, v59, v48
	v_fma_f16 v18, v61, v18, -v69
	v_fmac_f16_e32 v70, v61, v49
	v_fma_f16 v16, v41, v16, -v71
	v_fmac_f16_e32 v72, v41, v50
	v_fma_f16 v21, v57, v21, -v73
	v_fmac_f16_e32 v74, v57, v51
	v_fma_f16 v14, v59, v14, -v75
	v_fmac_f16_e32 v76, v59, v52
	v_fma_f16 v19, v61, v19, -v77
	v_fmac_f16_e32 v78, v61, v53
	v_fma_f16 v17, v41, v17, -v79
	v_fmac_f16_e32 v54, v41, v55
	v_fma_f16 v12, v57, v12, -v80
	v_fmac_f16_e32 v58, v57, v56
	v_fma_f16 v15, v15, v59, -v81
	v_fmac_f16_e32 v60, v44, v59
	v_fma_f16 v39, v39, v61, -v82
	v_fmac_f16_e32 v62, v45, v61
	v_add_f16_e32 v41, v10, v9
	v_add_f16_e32 v44, v20, v13
	v_sub_f16_e32 v47, v9, v20
	v_sub_f16_e32 v48, v18, v13
	v_add_f16_e32 v49, v9, v18
	v_add_f16_e32 v52, v38, v64
	;; [unrolled: 1-line block ×4, first 2 shown]
	v_sub_f16_e32 v45, v64, v70
	v_sub_f16_e32 v50, v20, v9
	;; [unrolled: 1-line block ×6, first 2 shown]
	v_add_f16_e32 v64, v11, v16
	v_add_f16_e32 v65, v21, v14
	v_add_f16_e32 v80, v37, v72
	v_add_f16_e32 v81, v74, v76
	v_add_f16_e32 v75, v16, v19
	v_add_f16_e32 v85, v72, v78
	v_sub_f16_e32 v9, v9, v18
	v_sub_f16_e32 v55, v20, v13
	;; [unrolled: 1-line block ×4, first 2 shown]
	v_add_f16_e32 v87, v8, v17
	v_add_f16_e32 v88, v12, v15
	;; [unrolled: 1-line block ×7, first 2 shown]
	v_fma_f16 v41, -0.5, v44, v10
	v_add_f16_e32 v44, v47, v48
	v_fma_f16 v10, -0.5, v49, v10
	v_add_f16_e32 v48, v52, v66
	v_fma_f16 v49, -0.5, v53, v38
	v_sub_f16_e32 v46, v66, v68
	v_fmac_f16_e32 v38, -0.5, v59
	v_sub_f16_e32 v67, v72, v78
	v_sub_f16_e32 v77, v21, v16
	;; [unrolled: 1-line block ×4, first 2 shown]
	v_add_f16_e32 v47, v50, v51
	v_add_f16_e32 v50, v56, v57
	;; [unrolled: 1-line block ×3, first 2 shown]
	v_fma_f16 v52, -0.5, v65, v11
	v_add_f16_e32 v57, v80, v74
	v_fma_f16 v59, -0.5, v81, v37
	v_sub_f16_e32 v69, v74, v76
	v_sub_f16_e32 v79, v14, v19
	v_fmac_f16_e32 v11, -0.5, v75
	v_fmac_f16_e32 v37, -0.5, v85
	v_sub_f16_e32 v63, v68, v70
	v_sub_f16_e32 v89, v54, v62
	;; [unrolled: 1-line block ×9, first 2 shown]
	v_add_f16_e32 v53, v71, v73
	v_add_f16_e32 v12, v87, v12
	v_fma_f16 v64, -0.5, v88, v8
	v_fmac_f16_e32 v8, -0.5, v93
	v_add_f16_e32 v58, v96, v58
	v_fma_f16 v71, -0.5, v97, v36
	v_fmac_f16_e32 v36, -0.5, v101
	v_add_f16_e32 v13, v20, v13
	v_fmamk_f16 v20, v45, 0x3b9c, v41
	v_add_f16_e32 v48, v48, v68
	v_fmamk_f16 v68, v9, 0xbb9c, v49
	v_sub_f16_e32 v83, v72, v74
	v_sub_f16_e32 v72, v74, v72
	v_fmamk_f16 v73, v46, 0xbb9c, v10
	v_fmac_f16_e32 v10, 0x3b9c, v46
	v_fmamk_f16 v74, v55, 0x3b9c, v38
	v_fmac_f16_e32 v38, 0xbb9c, v55
	v_fmac_f16_e32 v41, 0xbb9c, v45
	;; [unrolled: 1-line block ×3, first 2 shown]
	v_sub_f16_e32 v84, v78, v76
	v_sub_f16_e32 v86, v76, v78
	v_add_f16_e32 v14, v21, v14
	v_fmamk_f16 v21, v67, 0x3b9c, v52
	v_add_f16_e32 v57, v57, v76
	v_fmamk_f16 v76, v16, 0xbb9c, v59
	;; [unrolled: 2-line block ×3, first 2 shown]
	v_fmac_f16_e32 v11, 0x3b9c, v69
	v_fmamk_f16 v77, v82, 0x3b9c, v37
	v_fmac_f16_e32 v37, 0xbb9c, v82
	v_sub_f16_e32 v92, v39, v15
	v_sub_f16_e32 v95, v15, v39
	;; [unrolled: 1-line block ×4, first 2 shown]
	v_fmac_f16_e32 v52, 0xbb9c, v67
	v_fmac_f16_e32 v59, 0x3b9c, v16
	v_add_f16_e32 v12, v12, v15
	v_fmamk_f16 v15, v89, 0x3b9c, v64
	v_fmac_f16_e32 v64, 0xbb9c, v89
	v_fmamk_f16 v79, v90, 0xbb9c, v8
	v_fmac_f16_e32 v8, 0x3b9c, v90
	v_add_f16_e32 v58, v58, v60
	v_fmamk_f16 v60, v17, 0xbb9c, v71
	v_fmac_f16_e32 v71, 0x3b9c, v17
	v_fmamk_f16 v80, v98, 0x3b9c, v36
	v_fmac_f16_e32 v36, 0xbb9c, v98
	v_fmac_f16_e32 v20, 0x38b4, v46
	;; [unrolled: 1-line block ×3, first 2 shown]
	v_add_f16_e32 v51, v61, v63
	v_fmac_f16_e32 v73, 0x38b4, v45
	v_fmac_f16_e32 v10, 0xb8b4, v45
	;; [unrolled: 1-line block ×6, first 2 shown]
	v_add_f16_e32 v61, v83, v84
	v_fmac_f16_e32 v21, 0x38b4, v69
	v_fmac_f16_e32 v76, 0xb8b4, v82
	v_add_f16_e32 v63, v72, v86
	v_fmac_f16_e32 v75, 0x38b4, v67
	v_fmac_f16_e32 v11, 0xb8b4, v67
	;; [unrolled: 1-line block ×4, first 2 shown]
	v_add_f16_e32 v65, v91, v92
	v_add_f16_e32 v66, v94, v95
	;; [unrolled: 1-line block ×7, first 2 shown]
	v_fmac_f16_e32 v52, 0xb8b4, v69
	v_add_f16_e32 v14, v57, v78
	v_fmac_f16_e32 v59, 0x38b4, v82
	v_fmac_f16_e32 v15, 0x38b4, v90
	;; [unrolled: 1-line block ×11, first 2 shown]
	v_add_f16_e32 v12, v12, v39
	v_add_f16_e32 v16, v58, v62
	v_fmac_f16_e32 v73, 0x34f2, v47
	v_fmac_f16_e32 v10, 0x34f2, v47
	;; [unrolled: 1-line block ×22, first 2 shown]
	v_pack_b32_f16 v13, v13, v18
	v_pack_b32_f16 v9, v9, v14
	;; [unrolled: 1-line block ×15, first 2 shown]
	ds_store_2addr_b32 v43, v13, v14 offset1:16
	ds_store_2addr_b32 v43, v16, v10 offset0:32 offset1:48
	ds_store_b32 v43, v17 offset:256
	ds_store_2addr_b32 v42, v9, v18 offset1:16
	ds_store_2addr_b32 v42, v19, v11 offset0:32 offset1:48
	ds_store_b32 v42, v20 offset:256
	;; [unrolled: 3-line block ×3, first 2 shown]
	s_and_saveexec_b32 s1, s0
	s_cbranch_execz .LBB0_21
; %bb.20:
	v_add_co_u32 v8, s0, s4, v35
	s_wait_alu 0xf1ff
	v_add_co_ci_u32_e64 v9, null, s5, 0, s0
	v_mul_f16_e32 v12, v27, v32
	s_delay_alu instid0(VALU_DEP_3) | instskip(SKIP_1) | instid1(VALU_DEP_3)
	v_add_co_u32 v8, s0, v8, 12
	s_wait_alu 0xf1ff
	v_add_co_ci_u32_e64 v9, s0, 0, v9, s0
	v_mul_f16_e32 v11, v6, v32
	v_mul_f16_e32 v13, v26, v33
	v_fma_f16 v6, v6, v28, -v12
	global_load_u16 v8, v[8:9], off offset:2
	v_mul_f16_e32 v9, v4, v34
	v_mul_f16_e32 v10, v7, v33
	;; [unrolled: 1-line block ×3, first 2 shown]
	v_fmac_f16_e32 v11, v27, v28
	v_fma_f16 v7, v7, v29, -v13
	v_add_f16_e32 v13, v1, v6
	v_fmac_f16_e32 v10, v26, v29
	v_fma_f16 v4, v4, v31, -v14
	v_fmac_f16_e32 v9, v25, v31
	v_add_f16_e32 v12, v23, v11
	v_add_f16_e32 v13, v13, v7
	v_sub_f16_e32 v14, v10, v11
	v_sub_f16_e32 v16, v7, v4
	;; [unrolled: 1-line block ×3, first 2 shown]
	v_add_f16_e32 v18, v10, v9
	v_add_f16_e32 v12, v12, v10
	v_sub_f16_e32 v20, v7, v6
	v_add_f16_e32 v13, v13, v4
	v_add_nc_u32_e32 v15, 0x1000, v22
	s_delay_alu instid0(VALU_DEP_4) | instskip(SKIP_3) | instid1(VALU_DEP_2)
	v_add_f16_e32 v12, v12, v9
	s_wait_loadcnt 0x0
	v_mul_f16_e32 v19, v5, v8
	v_mul_f16_e32 v8, v24, v8
	v_fmac_f16_e32 v19, v24, v30
	s_delay_alu instid0(VALU_DEP_2)
	v_fma_f16 v5, v5, v30, -v8
	v_sub_f16_e32 v8, v10, v9
	v_sub_f16_e32 v10, v6, v7
	v_add_f16_e32 v7, v7, v4
	v_sub_f16_e32 v21, v9, v19
	v_sub_f16_e32 v24, v6, v5
	v_add_f16_e32 v25, v11, v19
	v_add_f16_e32 v6, v6, v5
	;; [unrolled: 1-line block ×3, first 2 shown]
	v_sub_f16_e32 v26, v4, v5
	v_sub_f16_e32 v11, v11, v19
	;; [unrolled: 1-line block ×3, first 2 shown]
	v_add_f16_e32 v5, v14, v21
	v_fma_f16 v14, -0.5, v25, v23
	v_fmac_f16_e32 v23, -0.5, v18
	v_fma_f16 v6, -0.5, v6, v1
	v_fmac_f16_e32 v1, -0.5, v7
	v_add_f16_e32 v12, v12, v19
	v_sub_f16_e32 v9, v19, v9
	v_add_f16_e32 v4, v10, v4
	v_fmamk_f16 v10, v24, 0x3b9c, v23
	v_fmac_f16_e32 v23, 0xbb9c, v24
	v_fmamk_f16 v19, v11, 0xbb9c, v1
	v_fmac_f16_e32 v1, 0x3b9c, v11
	;; [unrolled: 2-line block ×4, first 2 shown]
	v_add_f16_e32 v9, v17, v9
	v_fmac_f16_e32 v23, 0xb8b4, v16
	v_fmac_f16_e32 v1, 0x38b4, v8
	v_add_f16_e32 v17, v20, v26
	v_fmac_f16_e32 v7, 0x38b4, v24
	v_fmac_f16_e32 v14, 0xb8b4, v24
	;; [unrolled: 1-line block ×14, first 2 shown]
	v_pack_b32_f16 v4, v13, v12
	v_pack_b32_f16 v1, v1, v23
	;; [unrolled: 1-line block ×5, first 2 shown]
	ds_store_2addr_b32 v15, v4, v1 offset0:176 offset1:192
	ds_store_2addr_b32 v15, v5, v6 offset0:208 offset1:224
	ds_store_b32 v22, v7 offset:5056
.LBB0_21:
	s_wait_alu 0xfffe
	s_or_b32 exec_lo, exec_lo, s1
	v_mul_u32_u24_e32 v1, 15, v0
	global_wb scope:SCOPE_SE
	s_wait_dscnt 0x0
	s_barrier_signal -1
	s_barrier_wait -1
	global_inv scope:SCOPE_SE
	v_lshlrev_b32_e32 v1, 2, v1
	v_add_nc_u32_e32 v37, 0x800, v22
	v_add_nc_u32_e32 v38, 0xc00, v22
	;; [unrolled: 1-line block ×4, first 2 shown]
	s_clause 0x3
	global_load_b128 v[4:7], v1, s[4:5] offset:256
	global_load_b128 v[8:11], v1, s[4:5] offset:272
	global_load_b128 v[12:15], v1, s[4:5] offset:288
	global_load_b96 v[16:18], v1, s[4:5] offset:304
	v_add_nc_u32_e32 v1, 0x400, v22
	v_add_nc_u32_e32 v40, 0x1000, v22
	ds_load_2addr_b32 v[19:20], v22 offset1:80
	ds_load_2addr_b32 v[23:24], v22 offset0:160 offset1:240
	ds_load_2addr_b32 v[25:26], v1 offset0:64 offset1:144
	;; [unrolled: 1-line block ×7, first 2 shown]
	global_wb scope:SCOPE_SE
	s_wait_loadcnt_dscnt 0x0
	s_barrier_signal -1
	s_barrier_wait -1
	global_inv scope:SCOPE_SE
	v_lshrrev_b32_e32 v41, 16, v20
	v_lshrrev_b32_e32 v42, 16, v23
	;; [unrolled: 1-line block ×31, first 2 shown]
	v_mul_f16_e32 v72, v57, v41
	v_mul_f16_e32 v57, v57, v20
	;; [unrolled: 1-line block ×30, first 2 shown]
	v_fma_f16 v20, v4, v20, -v72
	v_fmac_f16_e32 v57, v4, v41
	v_fma_f16 v4, v5, v23, -v73
	v_fmac_f16_e32 v58, v5, v42
	;; [unrolled: 2-line block ×15, first 2 shown]
	v_sub_f16_e32 v10, v19, v10
	v_sub_f16_e32 v18, v44, v64
	v_sub_f16_e32 v14, v6, v14
	v_sub_f16_e32 v23, v60, v68
	v_sub_f16_e32 v12, v4, v12
	v_sub_f16_e32 v24, v58, v66
	v_sub_f16_e32 v16, v8, v16
	v_sub_f16_e32 v25, v62, v70
	v_sub_f16_e32 v11, v20, v11
	v_sub_f16_e32 v26, v57, v65
	v_sub_f16_e32 v15, v7, v15
	v_sub_f16_e32 v27, v61, v69
	v_sub_f16_e32 v13, v5, v13
	v_sub_f16_e32 v28, v59, v67
	v_sub_f16_e32 v17, v9, v17
	v_sub_f16_e32 v29, v63, v71
	v_fma_f16 v19, v19, 2.0, -v10
	v_fma_f16 v30, v44, 2.0, -v18
	;; [unrolled: 1-line block ×16, first 2 shown]
	v_sub_f16_e32 v23, v10, v23
	v_add_f16_e32 v14, v18, v14
	v_sub_f16_e32 v25, v12, v25
	v_add_f16_e32 v16, v24, v16
	v_sub_f16_e32 v27, v11, v27
	v_add_f16_e32 v15, v26, v15
	v_sub_f16_e32 v29, v13, v29
	v_add_f16_e32 v17, v28, v17
	v_sub_f16_e32 v6, v19, v6
	v_sub_f16_e32 v31, v30, v31
	v_fma_f16 v10, v10, 2.0, -v23
	v_fma_f16 v18, v18, 2.0, -v14
	v_sub_f16_e32 v8, v4, v8
	v_sub_f16_e32 v33, v32, v33
	v_fma_f16 v12, v12, 2.0, -v25
	v_fma_f16 v24, v24, 2.0, -v16
	;; [unrolled: 4-line block ×4, first 2 shown]
	v_fmamk_f16 v42, v25, 0x39a8, v23
	v_fmamk_f16 v43, v16, 0x39a8, v14
	;; [unrolled: 1-line block ×4, first 2 shown]
	v_fma_f16 v19, v19, 2.0, -v6
	v_fma_f16 v30, v30, 2.0, -v31
	;; [unrolled: 1-line block ×8, first 2 shown]
	v_fmamk_f16 v46, v12, 0xb9a8, v10
	v_fmamk_f16 v47, v24, 0xb9a8, v18
	v_fmac_f16_e32 v42, 0xb9a8, v16
	v_fmac_f16_e32 v43, 0x39a8, v25
	v_fmamk_f16 v16, v13, 0xb9a8, v11
	v_fmamk_f16 v25, v28, 0xb9a8, v26
	v_sub_f16_e32 v33, v6, v33
	v_add_f16_e32 v8, v31, v8
	v_sub_f16_e32 v41, v7, v41
	v_add_f16_e32 v9, v35, v9
	v_fmac_f16_e32 v44, 0xb9a8, v17
	v_fmac_f16_e32 v45, 0x39a8, v29
	v_sub_f16_e32 v4, v19, v4
	v_sub_f16_e32 v17, v30, v32
	v_fmac_f16_e32 v46, 0xb9a8, v24
	v_fmac_f16_e32 v47, 0x39a8, v12
	v_sub_f16_e32 v5, v20, v5
	v_sub_f16_e32 v24, v34, v36
	v_fmac_f16_e32 v16, 0xb9a8, v28
	v_fmac_f16_e32 v25, 0x39a8, v13
	v_fma_f16 v6, v6, 2.0, -v33
	v_fma_f16 v12, v31, 2.0, -v8
	;; [unrolled: 1-line block ×8, first 2 shown]
	v_fmamk_f16 v28, v41, 0x39a8, v33
	v_fmamk_f16 v29, v9, 0x39a8, v8
	;; [unrolled: 1-line block ×4, first 2 shown]
	v_fma_f16 v19, v19, 2.0, -v4
	v_fma_f16 v30, v30, 2.0, -v17
	;; [unrolled: 1-line block ×8, first 2 shown]
	v_fmamk_f16 v35, v7, 0xb9a8, v6
	v_fmamk_f16 v36, v13, 0xb9a8, v12
	v_fmamk_f16 v48, v27, 0xb61f, v23
	v_fmamk_f16 v49, v15, 0xb61f, v14
	v_fmamk_f16 v50, v16, 0x361f, v46
	v_fmamk_f16 v51, v25, 0x361f, v47
	v_sub_f16_e32 v24, v4, v24
	v_add_f16_e32 v5, v17, v5
	v_fmac_f16_e32 v28, 0xb9a8, v9
	v_fmac_f16_e32 v29, 0x39a8, v41
	;; [unrolled: 1-line block ×4, first 2 shown]
	v_sub_f16_e32 v9, v19, v20
	v_sub_f16_e32 v20, v30, v34
	v_fmamk_f16 v34, v11, 0xbb64, v10
	v_fmamk_f16 v41, v26, 0xbb64, v18
	v_fmac_f16_e32 v35, 0xb9a8, v13
	v_fmac_f16_e32 v36, 0x39a8, v7
	;; [unrolled: 1-line block ×6, first 2 shown]
	v_fma_f16 v4, v4, 2.0, -v24
	v_fma_f16 v7, v17, 2.0, -v5
	;; [unrolled: 1-line block ×6, first 2 shown]
	v_pack_b32_f16 v5, v24, v5
	v_pack_b32_f16 v17, v28, v29
	;; [unrolled: 1-line block ×3, first 2 shown]
	v_fmac_f16_e32 v34, 0xb61f, v26
	v_fmac_f16_e32 v41, 0x361f, v11
	v_fma_f16 v6, v6, 2.0, -v35
	v_fma_f16 v11, v12, 2.0, -v36
	;; [unrolled: 1-line block ×6, first 2 shown]
	v_pack_b32_f16 v4, v4, v7
	v_pack_b32_f16 v7, v13, v8
	;; [unrolled: 1-line block ×3, first 2 shown]
	v_fma_f16 v19, v19, 2.0, -v9
	v_fma_f16 v25, v30, 2.0, -v20
	ds_store_2addr_b32 v40, v17, v24 offset0:96 offset1:176
	v_fma_f16 v10, v10, 2.0, -v34
	v_fma_f16 v17, v18, 2.0, -v41
	v_pack_b32_f16 v13, v35, v36
	v_pack_b32_f16 v15, v48, v49
	;; [unrolled: 1-line block ×7, first 2 shown]
	ds_store_2addr_b32 v21, v7, v8 offset0:96 offset1:176
	v_pack_b32_f16 v7, v34, v41
	v_pack_b32_f16 v18, v19, v25
	;; [unrolled: 1-line block ×3, first 2 shown]
	ds_store_2addr_b32 v38, v13, v15 offset0:32 offset1:112
	ds_store_2addr_b32 v39, v5, v16 offset0:64 offset1:144
	;; [unrolled: 1-line block ×5, first 2 shown]
	ds_store_2addr_b32 v22, v18, v8 offset1:80
	global_wb scope:SCOPE_SE
	s_wait_dscnt 0x0
	s_barrier_signal -1
	s_barrier_wait -1
	global_inv scope:SCOPE_SE
	s_and_saveexec_b32 s0, vcc_lo
	s_cbranch_execz .LBB0_23
; %bb.22:
	v_dual_mov_b32 v1, 0 :: v_dual_add_nc_u32 v4, 0x50, v0
	v_add_co_u32 v31, vcc_lo, s8, v2
	s_wait_alu 0xfffd
	v_add_co_ci_u32_e32 v32, vcc_lo, s9, v3, vcc_lo
	s_delay_alu instid0(VALU_DEP_3) | instskip(SKIP_3) | instid1(VALU_DEP_4)
	v_dual_mov_b32 v5, v1 :: v_dual_add_nc_u32 v8, 0xa0, v0
	v_lshlrev_b64_e32 v[2:3], 2, v[0:1]
	v_dual_mov_b32 v9, v1 :: v_dual_add_nc_u32 v10, 0xf0, v0
	v_lshl_add_u32 v30, v0, 2, 0
	v_lshlrev_b64_e32 v[4:5], 2, v[4:5]
	v_dual_mov_b32 v11, v1 :: v_dual_add_nc_u32 v14, 0x140, v0
	v_add_co_u32 v2, vcc_lo, v31, v2
	v_lshlrev_b64_e32 v[8:9], 2, v[8:9]
	v_dual_mov_b32 v15, v1 :: v_dual_add_nc_u32 v16, 0x400, v30
	s_wait_alu 0xfffd
	v_add_co_ci_u32_e32 v3, vcc_lo, v32, v3, vcc_lo
	ds_load_2addr_b32 v[6:7], v30 offset1:80
	v_add_co_u32 v4, vcc_lo, v31, v4
	v_lshlrev_b64_e32 v[10:11], 2, v[10:11]
	v_dual_mov_b32 v19, v1 :: v_dual_add_nc_u32 v18, 0x190, v0
	v_dual_mov_b32 v23, v1 :: v_dual_add_nc_u32 v24, 0x600, v30
	s_wait_alu 0xfffd
	v_add_co_ci_u32_e32 v5, vcc_lo, v32, v5, vcc_lo
	ds_load_2addr_b32 v[12:13], v30 offset0:160 offset1:240
	v_add_co_u32 v8, vcc_lo, v31, v8
	v_lshlrev_b64_e32 v[14:15], 2, v[14:15]
	ds_load_2addr_b32 v[16:17], v16 offset0:64 offset1:144
	v_dual_mov_b32 v21, v1 :: v_dual_add_nc_u32 v20, 0x1e0, v0
	s_wait_alu 0xfffd
	v_add_co_ci_u32_e32 v9, vcc_lo, v32, v9, vcc_lo
	v_add_co_u32 v10, vcc_lo, v31, v10
	v_lshlrev_b64_e32 v[18:19], 2, v[18:19]
	ds_load_2addr_b32 v[24:25], v24 offset0:96 offset1:176
	v_dual_mov_b32 v27, v1 :: v_dual_add_nc_u32 v22, 0x230, v0
	s_wait_alu 0xfffd
	v_add_co_ci_u32_e32 v11, vcc_lo, v32, v11, vcc_lo
	v_add_co_u32 v14, vcc_lo, v31, v14
	v_lshlrev_b64_e32 v[20:21], 2, v[20:21]
	s_wait_alu 0xfffd
	v_add_co_ci_u32_e32 v15, vcc_lo, v32, v15, vcc_lo
	v_add_co_u32 v18, vcc_lo, v31, v18
	v_lshlrev_b64_e32 v[22:23], 2, v[22:23]
	s_wait_alu 0xfffd
	v_add_co_ci_u32_e32 v19, vcc_lo, v32, v19, vcc_lo
	v_add_co_u32 v20, vcc_lo, v31, v20
	v_dual_mov_b32 v29, v1 :: v_dual_add_nc_u32 v26, 0x280, v0
	s_wait_alu 0xfffd
	v_add_co_ci_u32_e32 v21, vcc_lo, v32, v21, vcc_lo
	v_add_co_u32 v22, vcc_lo, v31, v22
	v_add_nc_u32_e32 v28, 0x2d0, v0
	s_wait_alu 0xfffd
	v_add_co_ci_u32_e32 v23, vcc_lo, v32, v23, vcc_lo
	s_wait_dscnt 0x3
	s_clause 0x1
	global_store_b32 v[2:3], v6, off
	global_store_b32 v[4:5], v7, off
	s_wait_dscnt 0x2
	s_clause 0x1
	global_store_b32 v[8:9], v12, off
	global_store_b32 v[10:11], v13, off
	s_wait_dscnt 0x1
	s_clause 0x1
	global_store_b32 v[14:15], v16, off
	global_store_b32 v[18:19], v17, off
	s_wait_dscnt 0x0
	s_clause 0x1
	global_store_b32 v[20:21], v24, off
	global_store_b32 v[22:23], v25, off
	v_mov_b32_e32 v9, v1
	v_lshlrev_b64_e32 v[2:3], 2, v[26:27]
	v_dual_mov_b32 v13, v1 :: v_dual_add_nc_u32 v8, 0x320, v0
	v_lshlrev_b64_e32 v[6:7], 2, v[28:29]
	v_add_nc_u32_e32 v33, 0x800, v30
	v_dual_mov_b32 v17, v1 :: v_dual_add_nc_u32 v12, 0x370, v0
	v_add_co_u32 v2, vcc_lo, v31, v2
	v_dual_mov_b32 v15, v1 :: v_dual_add_nc_u32 v10, 0xc00, v30
	v_lshlrev_b64_e32 v[8:9], 2, v[8:9]
	v_dual_mov_b32 v21, v1 :: v_dual_add_nc_u32 v14, 0x3c0, v0
	s_wait_alu 0xfffd
	v_add_co_ci_u32_e32 v3, vcc_lo, v32, v3, vcc_lo
	v_add_nc_u32_e32 v18, 0xe00, v30
	ds_load_2addr_b32 v[4:5], v33 offset0:128 offset1:208
	v_add_co_u32 v6, vcc_lo, v31, v6
	v_lshlrev_b64_e32 v[12:13], 2, v[12:13]
	v_add_nc_u32_e32 v16, 0x410, v0
	v_add_nc_u32_e32 v22, 0x1000, v30
	s_wait_alu 0xfffd
	v_add_co_ci_u32_e32 v7, vcc_lo, v32, v7, vcc_lo
	ds_load_2addr_b32 v[10:11], v10 offset0:32 offset1:112
	v_add_co_u32 v8, vcc_lo, v31, v8
	v_lshlrev_b64_e32 v[14:15], 2, v[14:15]
	ds_load_2addr_b32 v[18:19], v18 offset0:64 offset1:144
	v_add_nc_u32_e32 v20, 0x460, v0
	s_wait_alu 0xfffd
	v_add_co_ci_u32_e32 v9, vcc_lo, v32, v9, vcc_lo
	v_add_co_u32 v12, vcc_lo, v31, v12
	v_lshlrev_b64_e32 v[16:17], 2, v[16:17]
	ds_load_2addr_b32 v[22:23], v22 offset0:96 offset1:176
	v_add_nc_u32_e32 v0, 0x4b0, v0
	s_wait_alu 0xfffd
	v_add_co_ci_u32_e32 v13, vcc_lo, v32, v13, vcc_lo
	v_add_co_u32 v14, vcc_lo, v31, v14
	v_lshlrev_b64_e32 v[20:21], 2, v[20:21]
	s_wait_alu 0xfffd
	v_add_co_ci_u32_e32 v15, vcc_lo, v32, v15, vcc_lo
	v_add_co_u32 v16, vcc_lo, v31, v16
	v_lshlrev_b64_e32 v[0:1], 2, v[0:1]
	s_wait_alu 0xfffd
	v_add_co_ci_u32_e32 v17, vcc_lo, v32, v17, vcc_lo
	v_add_co_u32 v20, vcc_lo, v31, v20
	s_wait_alu 0xfffd
	v_add_co_ci_u32_e32 v21, vcc_lo, v32, v21, vcc_lo
	v_add_co_u32 v0, vcc_lo, v31, v0
	s_wait_alu 0xfffd
	v_add_co_ci_u32_e32 v1, vcc_lo, v32, v1, vcc_lo
	s_wait_dscnt 0x3
	s_clause 0x1
	global_store_b32 v[2:3], v4, off
	global_store_b32 v[6:7], v5, off
	s_wait_dscnt 0x2
	s_clause 0x1
	global_store_b32 v[8:9], v10, off
	global_store_b32 v[12:13], v11, off
	;; [unrolled: 4-line block ×4, first 2 shown]
.LBB0_23:
	s_nop 0
	s_sendmsg sendmsg(MSG_DEALLOC_VGPRS)
	s_endpgm
	.section	.rodata,"a",@progbits
	.p2align	6, 0x0
	.amdhsa_kernel fft_rtc_fwd_len1280_factors_16_5_16_wgs_80_tpt_80_halfLds_half_ip_CI_unitstride_sbrr_C2R_dirReg
		.amdhsa_group_segment_fixed_size 0
		.amdhsa_private_segment_fixed_size 0
		.amdhsa_kernarg_size 88
		.amdhsa_user_sgpr_count 2
		.amdhsa_user_sgpr_dispatch_ptr 0
		.amdhsa_user_sgpr_queue_ptr 0
		.amdhsa_user_sgpr_kernarg_segment_ptr 1
		.amdhsa_user_sgpr_dispatch_id 0
		.amdhsa_user_sgpr_private_segment_size 0
		.amdhsa_wavefront_size32 1
		.amdhsa_uses_dynamic_stack 0
		.amdhsa_enable_private_segment 0
		.amdhsa_system_sgpr_workgroup_id_x 1
		.amdhsa_system_sgpr_workgroup_id_y 0
		.amdhsa_system_sgpr_workgroup_id_z 0
		.amdhsa_system_sgpr_workgroup_info 0
		.amdhsa_system_vgpr_workitem_id 0
		.amdhsa_next_free_vgpr 103
		.amdhsa_next_free_sgpr 32
		.amdhsa_reserve_vcc 1
		.amdhsa_float_round_mode_32 0
		.amdhsa_float_round_mode_16_64 0
		.amdhsa_float_denorm_mode_32 3
		.amdhsa_float_denorm_mode_16_64 3
		.amdhsa_fp16_overflow 0
		.amdhsa_workgroup_processor_mode 1
		.amdhsa_memory_ordered 1
		.amdhsa_forward_progress 0
		.amdhsa_round_robin_scheduling 0
		.amdhsa_exception_fp_ieee_invalid_op 0
		.amdhsa_exception_fp_denorm_src 0
		.amdhsa_exception_fp_ieee_div_zero 0
		.amdhsa_exception_fp_ieee_overflow 0
		.amdhsa_exception_fp_ieee_underflow 0
		.amdhsa_exception_fp_ieee_inexact 0
		.amdhsa_exception_int_div_zero 0
	.end_amdhsa_kernel
	.text
.Lfunc_end0:
	.size	fft_rtc_fwd_len1280_factors_16_5_16_wgs_80_tpt_80_halfLds_half_ip_CI_unitstride_sbrr_C2R_dirReg, .Lfunc_end0-fft_rtc_fwd_len1280_factors_16_5_16_wgs_80_tpt_80_halfLds_half_ip_CI_unitstride_sbrr_C2R_dirReg
                                        ; -- End function
	.section	.AMDGPU.csdata,"",@progbits
; Kernel info:
; codeLenInByte = 10072
; NumSgprs: 34
; NumVgprs: 103
; ScratchSize: 0
; MemoryBound: 0
; FloatMode: 240
; IeeeMode: 1
; LDSByteSize: 0 bytes/workgroup (compile time only)
; SGPRBlocks: 4
; VGPRBlocks: 12
; NumSGPRsForWavesPerEU: 34
; NumVGPRsForWavesPerEU: 103
; Occupancy: 12
; WaveLimiterHint : 1
; COMPUTE_PGM_RSRC2:SCRATCH_EN: 0
; COMPUTE_PGM_RSRC2:USER_SGPR: 2
; COMPUTE_PGM_RSRC2:TRAP_HANDLER: 0
; COMPUTE_PGM_RSRC2:TGID_X_EN: 1
; COMPUTE_PGM_RSRC2:TGID_Y_EN: 0
; COMPUTE_PGM_RSRC2:TGID_Z_EN: 0
; COMPUTE_PGM_RSRC2:TIDIG_COMP_CNT: 0
	.text
	.p2alignl 7, 3214868480
	.fill 96, 4, 3214868480
	.type	__hip_cuid_f39871fe92b08f30,@object ; @__hip_cuid_f39871fe92b08f30
	.section	.bss,"aw",@nobits
	.globl	__hip_cuid_f39871fe92b08f30
__hip_cuid_f39871fe92b08f30:
	.byte	0                               ; 0x0
	.size	__hip_cuid_f39871fe92b08f30, 1

	.ident	"AMD clang version 19.0.0git (https://github.com/RadeonOpenCompute/llvm-project roc-6.4.0 25133 c7fe45cf4b819c5991fe208aaa96edf142730f1d)"
	.section	".note.GNU-stack","",@progbits
	.addrsig
	.addrsig_sym __hip_cuid_f39871fe92b08f30
	.amdgpu_metadata
---
amdhsa.kernels:
  - .args:
      - .actual_access:  read_only
        .address_space:  global
        .offset:         0
        .size:           8
        .value_kind:     global_buffer
      - .offset:         8
        .size:           8
        .value_kind:     by_value
      - .actual_access:  read_only
        .address_space:  global
        .offset:         16
        .size:           8
        .value_kind:     global_buffer
      - .actual_access:  read_only
        .address_space:  global
        .offset:         24
        .size:           8
        .value_kind:     global_buffer
      - .offset:         32
        .size:           8
        .value_kind:     by_value
      - .actual_access:  read_only
        .address_space:  global
        .offset:         40
        .size:           8
        .value_kind:     global_buffer
      - .actual_access:  read_only
        .address_space:  global
        .offset:         48
        .size:           8
        .value_kind:     global_buffer
      - .offset:         56
        .size:           4
        .value_kind:     by_value
      - .actual_access:  read_only
        .address_space:  global
        .offset:         64
        .size:           8
        .value_kind:     global_buffer
      - .actual_access:  read_only
        .address_space:  global
        .offset:         72
        .size:           8
        .value_kind:     global_buffer
      - .address_space:  global
        .offset:         80
        .size:           8
        .value_kind:     global_buffer
    .group_segment_fixed_size: 0
    .kernarg_segment_align: 8
    .kernarg_segment_size: 88
    .language:       OpenCL C
    .language_version:
      - 2
      - 0
    .max_flat_workgroup_size: 80
    .name:           fft_rtc_fwd_len1280_factors_16_5_16_wgs_80_tpt_80_halfLds_half_ip_CI_unitstride_sbrr_C2R_dirReg
    .private_segment_fixed_size: 0
    .sgpr_count:     34
    .sgpr_spill_count: 0
    .symbol:         fft_rtc_fwd_len1280_factors_16_5_16_wgs_80_tpt_80_halfLds_half_ip_CI_unitstride_sbrr_C2R_dirReg.kd
    .uniform_work_group_size: 1
    .uses_dynamic_stack: false
    .vgpr_count:     103
    .vgpr_spill_count: 0
    .wavefront_size: 32
    .workgroup_processor_mode: 1
amdhsa.target:   amdgcn-amd-amdhsa--gfx1201
amdhsa.version:
  - 1
  - 2
...

	.end_amdgpu_metadata
